;; amdgpu-corpus repo=ROCm/rocFFT kind=compiled arch=gfx950 opt=O3
	.text
	.amdgcn_target "amdgcn-amd-amdhsa--gfx950"
	.amdhsa_code_object_version 6
	.protected	fft_rtc_fwd_len1050_factors_2_3_5_5_7_wgs_210_tpt_210_dp_op_CI_CI_unitstride_sbrr_R2C_dirReg ; -- Begin function fft_rtc_fwd_len1050_factors_2_3_5_5_7_wgs_210_tpt_210_dp_op_CI_CI_unitstride_sbrr_R2C_dirReg
	.globl	fft_rtc_fwd_len1050_factors_2_3_5_5_7_wgs_210_tpt_210_dp_op_CI_CI_unitstride_sbrr_R2C_dirReg
	.p2align	8
	.type	fft_rtc_fwd_len1050_factors_2_3_5_5_7_wgs_210_tpt_210_dp_op_CI_CI_unitstride_sbrr_R2C_dirReg,@function
fft_rtc_fwd_len1050_factors_2_3_5_5_7_wgs_210_tpt_210_dp_op_CI_CI_unitstride_sbrr_R2C_dirReg: ; @fft_rtc_fwd_len1050_factors_2_3_5_5_7_wgs_210_tpt_210_dp_op_CI_CI_unitstride_sbrr_R2C_dirReg
; %bb.0:
	s_load_dwordx4 s[4:7], s[0:1], 0x58
	s_load_dwordx4 s[8:11], s[0:1], 0x0
	;; [unrolled: 1-line block ×3, first 2 shown]
	v_mul_u32_u24_e32 v1, 0x139, v0
	v_add_u32_sdwa v6, s2, v1 dst_sel:DWORD dst_unused:UNUSED_PAD src0_sel:DWORD src1_sel:WORD_1
	v_mov_b32_e32 v4, 0
	s_waitcnt lgkmcnt(0)
	v_cmp_lt_u64_e64 s[2:3], s[10:11], 2
	v_mov_b32_e32 v7, v4
	s_and_b64 vcc, exec, s[2:3]
	v_mov_b64_e32 v[2:3], 0
	s_cbranch_vccnz .LBB0_8
; %bb.1:
	s_load_dwordx2 s[2:3], s[0:1], 0x10
	s_add_u32 s16, s14, 8
	s_addc_u32 s17, s15, 0
	s_add_u32 s18, s12, 8
	s_addc_u32 s19, s13, 0
	s_waitcnt lgkmcnt(0)
	s_add_u32 s20, s2, 8
	v_mov_b64_e32 v[2:3], 0
	s_addc_u32 s21, s3, 0
	s_mov_b64 s[22:23], 1
	v_mov_b64_e32 v[28:29], v[2:3]
.LBB0_2:                                ; =>This Inner Loop Header: Depth=1
	s_load_dwordx2 s[24:25], s[20:21], 0x0
                                        ; implicit-def: $vgpr30_vgpr31
	s_waitcnt lgkmcnt(0)
	v_or_b32_e32 v5, s25, v7
	v_cmp_ne_u64_e32 vcc, 0, v[4:5]
	s_and_saveexec_b64 s[2:3], vcc
	s_xor_b64 s[26:27], exec, s[2:3]
	s_cbranch_execz .LBB0_4
; %bb.3:                                ;   in Loop: Header=BB0_2 Depth=1
	v_cvt_f32_u32_e32 v1, s24
	v_cvt_f32_u32_e32 v5, s25
	s_sub_u32 s2, 0, s24
	s_subb_u32 s3, 0, s25
	v_fmac_f32_e32 v1, 0x4f800000, v5
	v_rcp_f32_e32 v1, v1
	s_nop 0
	v_mul_f32_e32 v1, 0x5f7ffffc, v1
	v_mul_f32_e32 v5, 0x2f800000, v1
	v_trunc_f32_e32 v5, v5
	v_fmac_f32_e32 v1, 0xcf800000, v5
	v_cvt_u32_f32_e32 v5, v5
	v_cvt_u32_f32_e32 v1, v1
	v_mul_lo_u32 v8, s2, v5
	v_mul_hi_u32 v10, s2, v1
	v_mul_lo_u32 v9, s3, v1
	v_add_u32_e32 v10, v10, v8
	v_mul_lo_u32 v12, s2, v1
	v_add_u32_e32 v13, v10, v9
	v_mul_hi_u32 v8, v1, v12
	v_mul_hi_u32 v11, v1, v13
	v_mul_lo_u32 v10, v1, v13
	v_mov_b32_e32 v9, v4
	v_lshl_add_u64 v[8:9], v[8:9], 0, v[10:11]
	v_mul_hi_u32 v11, v5, v12
	v_mul_lo_u32 v12, v5, v12
	v_add_co_u32_e32 v8, vcc, v8, v12
	v_mul_hi_u32 v10, v5, v13
	s_nop 0
	v_addc_co_u32_e32 v8, vcc, v9, v11, vcc
	v_mov_b32_e32 v9, v4
	s_nop 0
	v_addc_co_u32_e32 v11, vcc, 0, v10, vcc
	v_mul_lo_u32 v10, v5, v13
	v_lshl_add_u64 v[8:9], v[8:9], 0, v[10:11]
	v_add_co_u32_e32 v1, vcc, v1, v8
	v_mul_lo_u32 v10, s2, v1
	s_nop 0
	v_addc_co_u32_e32 v5, vcc, v5, v9, vcc
	v_mul_lo_u32 v8, s2, v5
	v_mul_hi_u32 v9, s2, v1
	v_add_u32_e32 v8, v9, v8
	v_mul_lo_u32 v9, s3, v1
	v_add_u32_e32 v12, v8, v9
	v_mul_hi_u32 v14, v5, v10
	v_mul_lo_u32 v15, v5, v10
	v_mul_hi_u32 v9, v1, v12
	v_mul_lo_u32 v8, v1, v12
	v_mul_hi_u32 v10, v1, v10
	v_mov_b32_e32 v11, v4
	v_lshl_add_u64 v[8:9], v[10:11], 0, v[8:9]
	v_add_co_u32_e32 v8, vcc, v8, v15
	v_mul_hi_u32 v13, v5, v12
	s_nop 0
	v_addc_co_u32_e32 v8, vcc, v9, v14, vcc
	v_mul_lo_u32 v10, v5, v12
	s_nop 0
	v_addc_co_u32_e32 v11, vcc, 0, v13, vcc
	v_mov_b32_e32 v9, v4
	v_lshl_add_u64 v[8:9], v[8:9], 0, v[10:11]
	v_add_co_u32_e32 v1, vcc, v1, v8
	v_mul_hi_u32 v10, v6, v1
	s_nop 0
	v_addc_co_u32_e32 v5, vcc, v5, v9, vcc
	v_mad_u64_u32 v[8:9], s[2:3], v6, v5, 0
	v_mov_b32_e32 v11, v4
	v_lshl_add_u64 v[8:9], v[10:11], 0, v[8:9]
	v_mad_u64_u32 v[12:13], s[2:3], v7, v1, 0
	v_add_co_u32_e32 v1, vcc, v8, v12
	v_mad_u64_u32 v[10:11], s[2:3], v7, v5, 0
	s_nop 0
	v_addc_co_u32_e32 v8, vcc, v9, v13, vcc
	v_mov_b32_e32 v9, v4
	s_nop 0
	v_addc_co_u32_e32 v11, vcc, 0, v11, vcc
	v_lshl_add_u64 v[8:9], v[8:9], 0, v[10:11]
	v_mul_lo_u32 v1, s25, v8
	v_mul_lo_u32 v5, s24, v9
	v_mad_u64_u32 v[10:11], s[2:3], s24, v8, 0
	v_add3_u32 v1, v11, v5, v1
	v_sub_u32_e32 v5, v7, v1
	v_mov_b32_e32 v11, s25
	v_sub_co_u32_e32 v14, vcc, v6, v10
	v_lshl_add_u64 v[12:13], v[8:9], 0, 1
	s_nop 0
	v_subb_co_u32_e64 v5, s[2:3], v5, v11, vcc
	v_subrev_co_u32_e64 v10, s[2:3], s24, v14
	v_subb_co_u32_e32 v1, vcc, v7, v1, vcc
	s_nop 0
	v_subbrev_co_u32_e64 v5, s[2:3], 0, v5, s[2:3]
	v_cmp_le_u32_e64 s[2:3], s25, v5
	v_cmp_le_u32_e32 vcc, s25, v1
	s_nop 0
	v_cndmask_b32_e64 v11, 0, -1, s[2:3]
	v_cmp_le_u32_e64 s[2:3], s24, v10
	s_nop 1
	v_cndmask_b32_e64 v10, 0, -1, s[2:3]
	v_cmp_eq_u32_e64 s[2:3], s25, v5
	s_nop 1
	v_cndmask_b32_e64 v5, v11, v10, s[2:3]
	v_lshl_add_u64 v[10:11], v[8:9], 0, 2
	v_cmp_ne_u32_e64 s[2:3], 0, v5
	s_nop 1
	v_cndmask_b32_e64 v5, v13, v11, s[2:3]
	v_cndmask_b32_e64 v11, 0, -1, vcc
	v_cmp_le_u32_e32 vcc, s24, v14
	s_nop 1
	v_cndmask_b32_e64 v13, 0, -1, vcc
	v_cmp_eq_u32_e32 vcc, s25, v1
	s_nop 1
	v_cndmask_b32_e32 v1, v11, v13, vcc
	v_cmp_ne_u32_e32 vcc, 0, v1
	v_cndmask_b32_e64 v1, v12, v10, s[2:3]
	s_nop 0
	v_cndmask_b32_e32 v31, v9, v5, vcc
	v_cndmask_b32_e32 v30, v8, v1, vcc
.LBB0_4:                                ;   in Loop: Header=BB0_2 Depth=1
	s_andn2_saveexec_b64 s[2:3], s[26:27]
	s_cbranch_execz .LBB0_6
; %bb.5:                                ;   in Loop: Header=BB0_2 Depth=1
	v_cvt_f32_u32_e32 v1, s24
	s_sub_i32 s26, 0, s24
	v_mov_b32_e32 v31, v4
	v_rcp_iflag_f32_e32 v1, v1
	s_nop 0
	v_mul_f32_e32 v1, 0x4f7ffffe, v1
	v_cvt_u32_f32_e32 v1, v1
	v_mul_lo_u32 v5, s26, v1
	v_mul_hi_u32 v5, v1, v5
	v_add_u32_e32 v1, v1, v5
	v_mul_hi_u32 v1, v6, v1
	v_mul_lo_u32 v5, v1, s24
	v_sub_u32_e32 v5, v6, v5
	v_add_u32_e32 v8, 1, v1
	v_subrev_u32_e32 v9, s24, v5
	v_cmp_le_u32_e32 vcc, s24, v5
	s_nop 1
	v_cndmask_b32_e32 v5, v5, v9, vcc
	v_cndmask_b32_e32 v1, v1, v8, vcc
	v_add_u32_e32 v8, 1, v1
	v_cmp_le_u32_e32 vcc, s24, v5
	s_nop 1
	v_cndmask_b32_e32 v30, v1, v8, vcc
.LBB0_6:                                ;   in Loop: Header=BB0_2 Depth=1
	s_or_b64 exec, exec, s[2:3]
	v_mad_u64_u32 v[8:9], s[2:3], v30, s24, 0
	s_load_dwordx2 s[2:3], s[18:19], 0x0
	v_mul_lo_u32 v1, v31, s24
	v_mul_lo_u32 v5, v30, s25
	s_load_dwordx2 s[24:25], s[16:17], 0x0
	s_add_u32 s22, s22, 1
	v_add3_u32 v1, v9, v5, v1
	v_sub_co_u32_e32 v5, vcc, v6, v8
	s_addc_u32 s23, s23, 0
	s_nop 0
	v_subb_co_u32_e32 v1, vcc, v7, v1, vcc
	s_add_u32 s16, s16, 8
	s_waitcnt lgkmcnt(0)
	v_mul_lo_u32 v6, s2, v1
	v_mul_lo_u32 v7, s3, v5
	v_mad_u64_u32 v[2:3], s[2:3], s2, v5, v[2:3]
	s_addc_u32 s17, s17, 0
	v_add3_u32 v3, v7, v3, v6
	v_mul_lo_u32 v1, s24, v1
	v_mul_lo_u32 v6, s25, v5
	v_mad_u64_u32 v[28:29], s[2:3], s24, v5, v[28:29]
	s_add_u32 s18, s18, 8
	v_add3_u32 v29, v6, v29, v1
	s_addc_u32 s19, s19, 0
	v_mov_b64_e32 v[6:7], s[10:11]
	s_add_u32 s20, s20, 8
	v_cmp_ge_u64_e32 vcc, s[22:23], v[6:7]
	s_addc_u32 s21, s21, 0
	s_cbranch_vccnz .LBB0_9
; %bb.7:                                ;   in Loop: Header=BB0_2 Depth=1
	v_mov_b64_e32 v[6:7], v[30:31]
	s_branch .LBB0_2
.LBB0_8:
	v_mov_b64_e32 v[28:29], v[2:3]
	v_mov_b64_e32 v[30:31], v[6:7]
.LBB0_9:
	s_load_dwordx2 s[18:19], s[0:1], 0x28
	s_lshl_b64 s[16:17], s[10:11], 3
	s_add_u32 s2, s14, s16
	s_addc_u32 s3, s15, s17
                                        ; implicit-def: $vgpr32
                                        ; implicit-def: $vgpr36
                                        ; implicit-def: $vgpr34
	s_waitcnt lgkmcnt(0)
	v_cmp_gt_u64_e64 s[0:1], s[18:19], v[30:31]
	v_cmp_le_u64_e32 vcc, s[18:19], v[30:31]
	s_and_saveexec_b64 s[10:11], vcc
	s_xor_b64 s[10:11], exec, s[10:11]
; %bb.10:
	s_mov_b32 s14, 0x1381382
	v_mul_hi_u32 v1, v0, s14
	v_mul_u32_u24_e32 v1, 0xd2, v1
	v_sub_u32_e32 v32, v0, v1
	v_add_u32_e32 v36, 0xd2, v32
	v_add_u32_e32 v34, 0x1a4, v32
                                        ; implicit-def: $vgpr0
                                        ; implicit-def: $vgpr2_vgpr3
; %bb.11:
	s_andn2_saveexec_b64 s[10:11], s[10:11]
	s_cbranch_execz .LBB0_13
; %bb.12:
	s_add_u32 s12, s12, s16
	s_addc_u32 s13, s13, s17
	s_load_dwordx2 s[12:13], s[12:13], 0x0
	s_mov_b32 s14, 0x1381382
	v_mov_b32_e32 v21, 0
	s_waitcnt lgkmcnt(0)
	v_mul_lo_u32 v1, s13, v30
	v_mul_lo_u32 v6, s12, v31
	v_mad_u64_u32 v[4:5], s[12:13], s12, v30, 0
	v_add3_u32 v5, v5, v6, v1
	v_mul_hi_u32 v1, v0, s14
	v_mul_u32_u24_e32 v1, 0xd2, v1
	v_sub_u32_e32 v32, v0, v1
	v_lshl_add_u64 v[0:1], v[4:5], 4, s[4:5]
	v_lshl_add_u64 v[0:1], v[2:3], 4, v[0:1]
	v_lshlrev_b32_e32 v20, 4, v32
	v_lshl_add_u64 v[16:17], v[0:1], 0, v[20:21]
	s_movk_i32 s4, 0x1000
	v_add_co_u32_e32 v18, vcc, s4, v16
	global_load_dwordx4 v[0:3], v[16:17], off
	global_load_dwordx4 v[4:7], v[16:17], off offset:3360
	v_addc_co_u32_e32 v19, vcc, 0, v17, vcc
	v_add_co_u32_e32 v22, vcc, 0x2000, v16
	v_add_u32_e32 v36, 0xd2, v32
	s_nop 0
	v_addc_co_u32_e32 v23, vcc, 0, v17, vcc
	global_load_dwordx4 v[8:11], v[18:19], off offset:2624
	global_load_dwordx4 v[12:15], v[22:23], off offset:1888
	v_add_co_u32_e32 v16, vcc, 0x3000, v16
	v_add_u32_e32 v20, 0, v20
	s_nop 0
	v_addc_co_u32_e32 v17, vcc, 0, v17, vcc
	global_load_dwordx4 v[16:19], v[16:17], off offset:1152
	v_add_u32_e32 v34, 0x1a4, v32
	s_waitcnt vmcnt(4)
	ds_write_b128 v20, v[0:3]
	s_waitcnt vmcnt(3)
	ds_write_b128 v20, v[4:7] offset:3360
	s_waitcnt vmcnt(2)
	ds_write_b128 v20, v[8:11] offset:6720
	;; [unrolled: 2-line block ×4, first 2 shown]
.LBB0_13:
	s_or_b64 exec, exec, s[10:11]
	v_lshlrev_b32_e32 v33, 4, v32
	v_add_u32_e32 v35, 0, v33
	s_load_dwordx2 s[4:5], s[2:3], 0x0
	s_waitcnt lgkmcnt(0)
	s_barrier
	ds_read_b128 v[0:3], v35 offset:8400
	ds_read_b128 v[4:7], v35
	ds_read_b128 v[8:11], v35 offset:3360
	ds_read_b128 v[16:19], v35 offset:6720
	;; [unrolled: 1-line block ×4, first 2 shown]
	s_waitcnt lgkmcnt(4)
	v_add_f64 v[24:25], v[4:5], -v[0:1]
	v_add_f64 v[26:27], v[6:7], -v[2:3]
	v_fma_f64 v[38:39], v[4:5], 2.0, -v[24:25]
	s_waitcnt lgkmcnt(1)
	v_add_f64 v[4:5], v[8:9], -v[12:13]
	s_waitcnt lgkmcnt(0)
	v_add_f64 v[12:13], v[16:17], -v[20:21]
	v_fma_f64 v[40:41], v[6:7], 2.0, -v[26:27]
	v_add_f64 v[6:7], v[10:11], -v[14:15]
	v_add_f64 v[14:15], v[18:19], -v[22:23]
	v_fma_f64 v[0:1], v[16:17], 2.0, -v[12:13]
	v_add_u32_e32 v16, v35, v33
	s_movk_i32 s2, 0x69
	v_fma_f64 v[8:9], v[8:9], 2.0, -v[4:5]
	v_fma_f64 v[10:11], v[10:11], 2.0, -v[6:7]
	;; [unrolled: 1-line block ×3, first 2 shown]
	s_barrier
	ds_write_b128 v16, v[38:41]
	ds_write_b128 v16, v[24:27] offset:16
	v_lshl_add_u32 v38, v36, 5, 0
	v_cmp_gt_u32_e32 vcc, s2, v32
	ds_write_b128 v38, v[8:11]
	ds_write_b128 v38, v[4:7] offset:16
	s_and_saveexec_b64 s[2:3], vcc
	s_cbranch_execz .LBB0_15
; %bb.14:
	v_lshl_add_u32 v8, v34, 5, 0
	ds_write_b128 v8, v[0:3]
	ds_write_b128 v8, v[12:15] offset:16
.LBB0_15:
	s_or_b64 exec, exec, s[2:3]
	s_waitcnt lgkmcnt(0)
	s_barrier
	ds_read_b128 v[8:11], v35
	ds_read_b128 v[20:23], v35 offset:5600
	ds_read_b128 v[16:19], v35 offset:11200
	s_movk_i32 s2, 0x8c
	v_cmp_gt_u32_e64 s[2:3], s2, v32
	v_lshlrev_b32_e32 v37, 4, v36
	s_and_saveexec_b64 s[10:11], s[2:3]
	s_cbranch_execz .LBB0_17
; %bb.16:
	v_sub_u32_e32 v0, v38, v37
	ds_read_b128 v[4:7], v0
	ds_read_b128 v[0:3], v35 offset:8960
	ds_read_b128 v[12:15], v35 offset:14560
.LBB0_17:
	s_or_b64 exec, exec, s[10:11]
	v_and_b32_e32 v39, 1, v32
	v_lshlrev_b32_e32 v24, 5, v39
	global_load_dwordx4 v[40:43], v24, s[8:9]
	global_load_dwordx4 v[44:47], v24, s[8:9] offset:16
	v_lshrrev_b32_e32 v24, 1, v32
	v_mul_u32_u24_e32 v24, 6, v24
	v_or_b32_e32 v24, v24, v39
	v_lshl_add_u32 v58, v24, 4, 0
	s_mov_b32 s10, 0xe8584caa
	s_mov_b32 s11, 0x3febb67a
	;; [unrolled: 1-line block ×4, first 2 shown]
	s_waitcnt lgkmcnt(0)
	s_barrier
	s_waitcnt vmcnt(1)
	v_mul_f64 v[48:49], v[22:23], v[42:43]
	v_mul_f64 v[50:51], v[20:21], v[42:43]
	s_waitcnt vmcnt(0)
	v_mul_f64 v[52:53], v[18:19], v[46:47]
	v_mul_f64 v[54:55], v[16:17], v[46:47]
	;; [unrolled: 1-line block ×6, first 2 shown]
	v_fma_f64 v[20:21], v[20:21], v[40:41], -v[48:49]
	v_fmac_f64_e32 v[50:51], v[22:23], v[40:41]
	v_fma_f64 v[22:23], v[16:17], v[44:45], -v[52:53]
	v_fmac_f64_e32 v[54:55], v[18:19], v[44:45]
	;; [unrolled: 2-line block ×4, first 2 shown]
	v_add_f64 v[0:1], v[8:9], v[20:21]
	v_add_f64 v[46:47], v[50:51], -v[54:55]
	v_add_f64 v[14:15], v[10:11], v[50:51]
	v_add_f64 v[44:45], v[50:51], v[54:55]
	;; [unrolled: 1-line block ×5, first 2 shown]
	v_add_f64 v[48:49], v[20:21], -v[22:23]
	v_add_f64 v[18:19], v[24:25], -v[26:27]
	;; [unrolled: 1-line block ×3, first 2 shown]
	v_add_f64 v[40:41], v[0:1], v[22:23]
	v_add_f64 v[42:43], v[14:15], v[54:55]
	v_fma_f64 v[14:15], -0.5, v[50:51], v[4:5]
	v_fma_f64 v[22:23], -0.5, v[52:53], v[6:7]
	v_fmac_f64_e32 v[8:9], -0.5, v[2:3]
	v_fmac_f64_e32 v[10:11], -0.5, v[44:45]
	v_fma_f64 v[0:1], s[12:13], v[18:19], v[14:15]
	v_fma_f64 v[2:3], s[10:11], v[20:21], v[22:23]
	;; [unrolled: 1-line block ×3, first 2 shown]
	v_fmac_f64_e32 v[8:9], s[12:13], v[46:47]
	v_fma_f64 v[46:47], s[12:13], v[48:49], v[10:11]
	v_fmac_f64_e32 v[10:11], s[10:11], v[48:49]
	ds_write_b128 v58, v[40:43]
	ds_write_b128 v58, v[44:47] offset:32
	ds_write_b128 v58, v[8:11] offset:64
	s_and_saveexec_b64 s[12:13], s[2:3]
	s_cbranch_execz .LBB0_19
; %bb.18:
	v_add_f64 v[4:5], v[4:5], v[16:17]
	v_add_f64 v[16:17], v[4:5], v[12:13]
	v_lshrrev_b32_e32 v4, 1, v36
	v_mul_lo_u32 v4, v4, 6
	v_add_f64 v[6:7], v[6:7], v[24:25]
	v_or_b32_e32 v4, v4, v39
	v_mul_f64 v[10:11], v[18:19], s[10:11]
	v_mul_f64 v[8:9], v[20:21], s[10:11]
	v_add_f64 v[18:19], v[6:7], v[26:27]
	v_lshl_add_u32 v4, v4, 4, 0
	v_add_f64 v[8:9], v[22:23], -v[8:9]
	v_add_f64 v[6:7], v[10:11], v[14:15]
	ds_write_b128 v4, v[16:19]
	ds_write_b128 v4, v[6:9] offset:32
	ds_write_b128 v4, v[0:3] offset:64
.LBB0_19:
	s_or_b64 exec, exec, s[12:13]
	s_movk_i32 s2, 0xab
	v_mul_lo_u16_sdwa v4, v32, s2 dst_sel:DWORD dst_unused:UNUSED_PAD src0_sel:BYTE_0 src1_sel:DWORD
	v_lshrrev_b16_e32 v70, 10, v4
	v_mul_lo_u16_e32 v4, 6, v70
	v_sub_u16_e32 v71, v32, v4
	v_mov_b32_e32 v72, 6
	v_lshlrev_b32_sdwa v20, v72, v71 dst_sel:DWORD dst_unused:UNUSED_PAD src0_sel:DWORD src1_sel:BYTE_0
	s_waitcnt lgkmcnt(0)
	s_barrier
	global_load_dwordx4 v[4:7], v20, s[8:9] offset:64
	global_load_dwordx4 v[8:11], v20, s[8:9] offset:80
	;; [unrolled: 1-line block ×4, first 2 shown]
	v_sub_u32_e32 v73, v38, v37
	v_lshl_add_u32 v39, v34, 4, 0
	ds_read_b128 v[20:23], v35
	ds_read_b128 v[24:27], v35 offset:10080
	ds_read_b128 v[40:43], v73
	ds_read_b128 v[44:47], v39
	ds_read_b128 v[48:51], v35 offset:13440
	s_mov_b32 s10, 0x134454ff
	s_mov_b32 s11, 0x3fee6f0e
	;; [unrolled: 1-line block ×10, first 2 shown]
	s_movk_i32 s18, 0x89
	s_waitcnt lgkmcnt(0)
	s_barrier
	s_waitcnt vmcnt(3)
	v_mul_f64 v[52:53], v[42:43], v[6:7]
	v_mul_f64 v[54:55], v[40:41], v[6:7]
	s_waitcnt vmcnt(2)
	v_mul_f64 v[6:7], v[46:47], v[10:11]
	v_mul_f64 v[56:57], v[44:45], v[10:11]
	;; [unrolled: 3-line block ×4, first 2 shown]
	v_fma_f64 v[18:19], v[40:41], v[4:5], -v[52:53]
	v_fmac_f64_e32 v[54:55], v[42:43], v[4:5]
	v_fma_f64 v[4:5], v[44:45], v[8:9], -v[6:7]
	v_fmac_f64_e32 v[56:57], v[46:47], v[8:9]
	v_fma_f64 v[8:9], v[24:25], v[12:13], -v[10:11]
	v_fma_f64 v[14:15], v[48:49], v[16:17], -v[14:15]
	v_fmac_f64_e32 v[58:59], v[26:27], v[12:13]
	v_fmac_f64_e32 v[60:61], v[50:51], v[16:17]
	v_add_f64 v[6:7], v[20:21], v[18:19]
	v_add_f64 v[10:11], v[4:5], v[8:9]
	;; [unrolled: 1-line block ×3, first 2 shown]
	v_add_f64 v[24:25], v[54:55], -v[60:61]
	v_add_f64 v[26:27], v[56:57], -v[58:59]
	;; [unrolled: 1-line block ×5, first 2 shown]
	v_add_f64 v[48:49], v[56:57], v[58:59]
	v_add_f64 v[52:53], v[4:5], -v[8:9]
	v_add_f64 v[64:65], v[54:55], v[60:61]
	v_add_f64 v[66:67], v[6:7], v[4:5]
	v_fma_f64 v[4:5], -0.5, v[10:11], v[20:21]
	v_fmac_f64_e32 v[20:21], -0.5, v[40:41]
	v_add_f64 v[44:45], v[8:9], -v[14:15]
	v_add_f64 v[46:47], v[22:23], v[54:55]
	v_add_f64 v[68:69], v[12:13], v[16:17]
	v_fma_f64 v[6:7], -0.5, v[48:49], v[22:23]
	v_add_f64 v[16:17], v[66:67], v[8:9]
	v_fma_f64 v[8:9], s[10:11], v[24:25], v[4:5]
	v_fmac_f64_e32 v[4:5], s[14:15], v[24:25]
	v_fma_f64 v[12:13], s[14:15], v[26:27], v[20:21]
	v_fmac_f64_e32 v[20:21], s[10:11], v[26:27]
	v_fmac_f64_e32 v[22:23], -0.5, v[64:65]
	v_add_f64 v[50:51], v[18:19], -v[14:15]
	v_add_f64 v[18:19], v[54:55], -v[56:57]
	;; [unrolled: 1-line block ×3, first 2 shown]
	v_add_f64 v[16:17], v[16:17], v[14:15]
	v_fmac_f64_e32 v[8:9], s[2:3], v[26:27]
	v_fmac_f64_e32 v[4:5], s[16:17], v[26:27]
	;; [unrolled: 1-line block ×4, first 2 shown]
	v_fma_f64 v[14:15], s[10:11], v[52:53], v[22:23]
	v_add_f64 v[24:25], v[56:57], -v[54:55]
	v_add_f64 v[26:27], v[58:59], -v[60:61]
	v_fmac_f64_e32 v[22:23], s[14:15], v[52:53]
	v_add_f64 v[40:41], v[42:43], v[44:45]
	v_add_f64 v[10:11], v[46:47], v[56:57]
	v_add_f64 v[42:43], v[18:19], v[62:63]
	v_fmac_f64_e32 v[14:15], s[16:17], v[50:51]
	v_add_f64 v[24:25], v[24:25], v[26:27]
	v_fmac_f64_e32 v[22:23], s[2:3], v[50:51]
	v_mov_b32_e32 v62, 4
	v_add_f64 v[18:19], v[10:11], v[58:59]
	v_fma_f64 v[10:11], s[14:15], v[50:51], v[6:7]
	v_fmac_f64_e32 v[6:7], s[10:11], v[50:51]
	v_fmac_f64_e32 v[14:15], s[12:13], v[24:25]
	;; [unrolled: 1-line block ×3, first 2 shown]
	v_mul_u32_u24_e32 v24, 0x1e0, v70
	v_lshlrev_b32_sdwa v25, v62, v71 dst_sel:DWORD dst_unused:UNUSED_PAD src0_sel:DWORD src1_sel:BYTE_0
	v_add_f64 v[18:19], v[18:19], v[60:61]
	v_fmac_f64_e32 v[10:11], s[16:17], v[52:53]
	v_fmac_f64_e32 v[6:7], s[2:3], v[52:53]
	v_fmac_f64_e32 v[4:5], s[12:13], v[68:69]
	v_add3_u32 v24, 0, v24, v25
	v_fmac_f64_e32 v[8:9], s[12:13], v[68:69]
	v_fmac_f64_e32 v[12:13], s[12:13], v[40:41]
	;; [unrolled: 1-line block ×5, first 2 shown]
	ds_write_b128 v24, v[16:19]
	ds_write_b128 v24, v[8:11] offset:96
	ds_write_b128 v24, v[12:15] offset:192
	;; [unrolled: 1-line block ×4, first 2 shown]
	v_mul_lo_u16_sdwa v4, v32, s18 dst_sel:DWORD dst_unused:UNUSED_PAD src0_sel:BYTE_0 src1_sel:DWORD
	v_lshrrev_b16_e32 v63, 12, v4
	v_mul_lo_u16_e32 v4, 30, v63
	v_sub_u16_e32 v64, v32, v4
	v_lshlrev_b32_sdwa v8, v72, v64 dst_sel:DWORD dst_unused:UNUSED_PAD src0_sel:DWORD src1_sel:BYTE_0
	s_waitcnt lgkmcnt(0)
	s_barrier
	global_load_dwordx4 v[4:7], v8, s[8:9] offset:448
	global_load_dwordx4 v[12:15], v8, s[8:9] offset:464
	;; [unrolled: 1-line block ×4, first 2 shown]
	ds_read_b128 v[24:27], v73
	ds_read_b128 v[40:43], v39
	;; [unrolled: 1-line block ×3, first 2 shown]
	ds_read_b128 v[44:47], v35 offset:10080
	ds_read_b128 v[48:51], v35 offset:13440
	s_waitcnt lgkmcnt(0)
	s_barrier
	s_waitcnt vmcnt(3)
	v_mul_f64 v[52:53], v[26:27], v[6:7]
	v_mul_f64 v[54:55], v[24:25], v[6:7]
	s_waitcnt vmcnt(2)
	v_mul_f64 v[6:7], v[42:43], v[14:15]
	v_mul_f64 v[56:57], v[40:41], v[14:15]
	s_waitcnt vmcnt(1)
	v_mul_f64 v[14:15], v[46:47], v[18:19]
	v_mul_f64 v[58:59], v[44:45], v[18:19]
	s_waitcnt vmcnt(0)
	v_mul_f64 v[18:19], v[50:51], v[22:23]
	v_fma_f64 v[24:25], v[24:25], v[4:5], -v[52:53]
	v_fmac_f64_e32 v[54:55], v[26:27], v[4:5]
	v_fma_f64 v[26:27], v[40:41], v[12:13], -v[6:7]
	v_fma_f64 v[40:41], v[44:45], v[16:17], -v[14:15]
	;; [unrolled: 1-line block ×3, first 2 shown]
	v_mul_f64 v[60:61], v[48:49], v[22:23]
	v_fmac_f64_e32 v[56:57], v[42:43], v[12:13]
	v_fmac_f64_e32 v[58:59], v[46:47], v[16:17]
	v_add_f64 v[6:7], v[26:27], v[40:41]
	v_add_f64 v[42:43], v[24:25], v[14:15]
	v_fmac_f64_e32 v[60:61], v[50:51], v[20:21]
	v_add_f64 v[4:5], v[8:9], v[24:25]
	v_add_f64 v[22:23], v[56:57], -v[58:59]
	v_add_f64 v[12:13], v[24:25], -v[26:27]
	;; [unrolled: 1-line block ×3, first 2 shown]
	v_fma_f64 v[20:21], -0.5, v[6:7], v[8:9]
	v_fmac_f64_e32 v[8:9], -0.5, v[42:43]
	v_add_f64 v[18:19], v[54:55], -v[60:61]
	v_add_f64 v[6:7], v[12:13], v[16:17]
	v_fma_f64 v[16:17], s[14:15], v[22:23], v[8:9]
	v_fmac_f64_e32 v[8:9], s[10:11], v[22:23]
	v_add_f64 v[4:5], v[4:5], v[26:27]
	v_fma_f64 v[12:13], s[10:11], v[18:19], v[20:21]
	v_fmac_f64_e32 v[20:21], s[14:15], v[18:19]
	v_fmac_f64_e32 v[16:17], s[2:3], v[18:19]
	;; [unrolled: 1-line block ×3, first 2 shown]
	v_add_f64 v[18:19], v[56:57], v[58:59]
	v_add_f64 v[44:45], v[26:27], -v[24:25]
	v_add_f64 v[4:5], v[4:5], v[40:41]
	v_fmac_f64_e32 v[12:13], s[2:3], v[22:23]
	v_fmac_f64_e32 v[20:21], s[16:17], v[22:23]
	v_fma_f64 v[22:23], -0.5, v[18:19], v[10:11]
	v_add_f64 v[24:25], v[24:25], -v[14:15]
	v_add_f64 v[46:47], v[40:41], -v[14:15]
	v_add_f64 v[4:5], v[4:5], v[14:15]
	v_fma_f64 v[14:15], s[14:15], v[24:25], v[22:23]
	v_add_f64 v[26:27], v[26:27], -v[40:41]
	v_add_f64 v[18:19], v[54:55], -v[56:57]
	;; [unrolled: 1-line block ×3, first 2 shown]
	v_fmac_f64_e32 v[22:23], s[10:11], v[24:25]
	v_fmac_f64_e32 v[14:15], s[16:17], v[26:27]
	v_add_f64 v[18:19], v[18:19], v[40:41]
	v_fmac_f64_e32 v[22:23], s[2:3], v[26:27]
	v_fmac_f64_e32 v[14:15], s[12:13], v[18:19]
	;; [unrolled: 1-line block ×3, first 2 shown]
	v_add_f64 v[18:19], v[54:55], v[60:61]
	v_add_f64 v[48:49], v[10:11], v[54:55]
	;; [unrolled: 1-line block ×3, first 2 shown]
	v_fmac_f64_e32 v[10:11], -0.5, v[18:19]
	v_add_f64 v[44:45], v[48:49], v[56:57]
	v_fmac_f64_e32 v[16:17], s[12:13], v[42:43]
	v_fmac_f64_e32 v[8:9], s[12:13], v[42:43]
	v_fma_f64 v[18:19], s[10:11], v[26:27], v[10:11]
	v_add_f64 v[40:41], v[56:57], -v[54:55]
	v_add_f64 v[42:43], v[58:59], -v[60:61]
	v_fmac_f64_e32 v[10:11], s[14:15], v[26:27]
	v_add_f64 v[44:45], v[44:45], v[58:59]
	v_fmac_f64_e32 v[18:19], s[16:17], v[24:25]
	v_add_f64 v[40:41], v[40:41], v[42:43]
	v_fmac_f64_e32 v[10:11], s[2:3], v[24:25]
	v_mul_u32_u24_e32 v24, 0x960, v63
	v_lshlrev_b32_sdwa v25, v62, v64 dst_sel:DWORD dst_unused:UNUSED_PAD src0_sel:DWORD src1_sel:BYTE_0
	s_movk_i32 s2, 0x96
	v_fmac_f64_e32 v[12:13], s[12:13], v[6:7]
	v_fmac_f64_e32 v[20:21], s[12:13], v[6:7]
	v_add_f64 v[6:7], v[44:45], v[60:61]
	v_fmac_f64_e32 v[18:19], s[12:13], v[40:41]
	v_fmac_f64_e32 v[10:11], s[12:13], v[40:41]
	v_add3_u32 v24, 0, v24, v25
	v_cmp_gt_u32_e64 s[2:3], s2, v32
	ds_write_b128 v24, v[4:7]
	ds_write_b128 v24, v[12:15] offset:480
	ds_write_b128 v24, v[16:19] offset:960
	;; [unrolled: 1-line block ×4, first 2 shown]
	s_waitcnt lgkmcnt(0)
	s_barrier
	s_waitcnt lgkmcnt(0)
                                        ; implicit-def: $vgpr26_vgpr27
	s_and_saveexec_b64 s[10:11], s[2:3]
	s_cbranch_execz .LBB0_21
; %bb.20:
	ds_read_b128 v[4:7], v35
	ds_read_b128 v[12:15], v35 offset:2400
	ds_read_b128 v[16:19], v35 offset:4800
	;; [unrolled: 1-line block ×6, first 2 shown]
.LBB0_21:
	s_or_b64 exec, exec, s[10:11]
	s_waitcnt lgkmcnt(0)
	s_barrier
	s_and_saveexec_b64 s[10:11], s[2:3]
	s_cbranch_execz .LBB0_23
; %bb.22:
	v_add_u32_e32 v40, 0xffffff6a, v32
	v_cndmask_b32_e64 v40, v40, v32, s[2:3]
	v_mul_i32_i24_e32 v40, 6, v40
	v_mov_b32_e32 v41, 0
	v_lshl_add_u64 v[64:65], v[40:41], 4, s[8:9]
	global_load_dwordx4 v[40:43], v[64:65], off offset:2416
	global_load_dwordx4 v[44:47], v[64:65], off offset:2400
	;; [unrolled: 1-line block ×6, first 2 shown]
	s_mov_b32 s14, 0xe976ee23
	s_mov_b32 s15, 0xbfe11646
	s_mov_b32 s20, 0x37e14327
	s_mov_b32 s16, 0x36b3c0b5
	s_mov_b32 s21, 0x3fe948f6
	s_mov_b32 s18, 0xaaaaaaaa
	s_mov_b32 s13, 0x3fd5d0dc
	s_mov_b32 s12, 0xb247c609
	s_mov_b32 s17, 0x3fac98ee
	s_mov_b32 s19, 0xbff2aaaa
	s_mov_b32 s2, 0x37c3f68c
	s_mov_b32 s3, 0x3fdc38aa
	s_waitcnt vmcnt(5)
	v_mul_f64 v[64:65], v[22:23], v[42:43]
	s_waitcnt vmcnt(4)
	v_mul_f64 v[66:67], v[10:11], v[46:47]
	v_mul_f64 v[46:47], v[8:9], v[46:47]
	s_waitcnt vmcnt(3)
	v_mul_f64 v[68:69], v[18:19], v[50:51]
	s_waitcnt vmcnt(2)
	;; [unrolled: 2-line block ×3, first 2 shown]
	v_mul_f64 v[72:73], v[14:15], v[58:59]
	v_fma_f64 v[8:9], v[8:9], v[44:45], -v[66:67]
	v_fmac_f64_e32 v[46:47], v[10:11], v[44:45]
	v_mul_f64 v[10:11], v[20:21], v[42:43]
	s_waitcnt vmcnt(0)
	v_mul_f64 v[42:43], v[26:27], v[62:63]
	v_mul_f64 v[44:45], v[16:17], v[50:51]
	;; [unrolled: 1-line block ×3, first 2 shown]
	v_fmac_f64_e32 v[10:11], v[22:23], v[40:41]
	v_mul_f64 v[22:23], v[12:13], v[58:59]
	v_fma_f64 v[16:17], v[16:17], v[48:49], -v[68:69]
	v_fmac_f64_e32 v[44:45], v[18:19], v[48:49]
	v_fma_f64 v[0:1], v[0:1], v[52:53], -v[70:71]
	v_fma_f64 v[12:13], v[12:13], v[56:57], -v[72:73]
	;; [unrolled: 1-line block ×4, first 2 shown]
	v_mul_f64 v[40:41], v[24:25], v[62:63]
	v_fmac_f64_e32 v[50:51], v[2:3], v[52:53]
	v_fmac_f64_e32 v[22:23], v[14:15], v[56:57]
	v_add_f64 v[14:15], v[16:17], -v[0:1]
	v_add_f64 v[24:25], v[12:13], -v[18:19]
	v_add_f64 v[16:17], v[16:17], v[0:1]
	v_add_f64 v[12:13], v[12:13], v[18:19]
	v_fmac_f64_e32 v[40:41], v[26:27], v[60:61]
	v_add_f64 v[2:3], v[20:21], -v[8:9]
	v_add_f64 v[8:9], v[8:9], v[20:21]
	v_add_f64 v[0:1], v[10:11], -v[46:47]
	v_add_f64 v[18:19], v[44:45], -v[50:51]
	v_add_f64 v[54:55], v[16:17], v[12:13]
	v_add_f64 v[26:27], v[46:47], v[10:11]
	;; [unrolled: 1-line block ×4, first 2 shown]
	v_add_f64 v[20:21], v[22:23], -v[40:41]
	v_add_f64 v[22:23], v[2:3], -v[14:15]
	;; [unrolled: 1-line block ×5, first 2 shown]
	v_add_f64 v[8:9], v[8:9], v[54:55]
	v_add_f64 v[10:11], v[2:3], v[14:15]
	v_add_f64 v[44:45], v[48:49], -v[26:27]
	v_add_f64 v[46:47], v[42:43], v[48:49]
	v_add_f64 v[56:57], v[0:1], v[18:19]
	v_add_f64 v[60:61], v[20:21], -v[0:1]
	v_mul_f64 v[22:23], v[22:23], s[14:15]
	v_mul_f64 v[54:55], v[58:59], s[14:15]
	v_add_f64 v[0:1], v[4:5], v[8:9]
	s_mov_b32 s14, 0x429ad128
	v_add_f64 v[40:41], v[24:25], -v[2:3]
	v_add_f64 v[2:3], v[26:27], -v[42:43]
	v_add_f64 v[62:63], v[10:11], v[24:25]
	v_mul_f64 v[10:11], v[44:45], s[20:21]
	v_add_f64 v[26:27], v[26:27], v[46:47]
	v_mov_b64_e32 v[66:67], v[0:1]
	v_add_f64 v[14:15], v[14:15], -v[24:25]
	s_mov_b32 s15, 0x3febfeb5
	v_mul_f64 v[64:65], v[2:3], s[16:17]
	v_mul_f64 v[46:47], v[52:53], s[20:21]
	v_add_f64 v[52:53], v[56:57], v[20:21]
	v_fma_f64 v[56:57], s[12:13], v[40:41], v[22:23]
	v_fma_f64 v[58:59], s[16:17], v[2:3], v[10:11]
	v_add_f64 v[2:3], v[6:7], v[26:27]
	v_fmac_f64_e32 v[66:67], s[18:19], v[8:9]
	v_fma_f64 v[68:69], s[12:13], v[60:61], v[54:55]
	v_mul_f64 v[8:9], v[14:15], s[14:15]
	s_mov_b32 s13, 0xbfd5d0dc
	v_mul_f64 v[44:45], v[50:51], s[16:17]
	v_fma_f64 v[6:7], s[16:17], v[50:51], v[46:47]
	v_mov_b64_e32 v[50:51], v[2:3]
	v_fma_f64 v[24:25], v[40:41], s[12:13], -v[8:9]
	v_add_f64 v[40:41], v[42:43], -v[48:49]
	s_mov_b32 s17, 0xbfe77f67
	s_mov_b32 s16, 0x5476071b
	v_fmac_f64_e32 v[50:51], s[18:19], v[26:27]
	v_fma_f64 v[8:9], v[40:41], s[16:17], -v[10:11]
	v_add_f64 v[12:13], v[16:17], -v[12:13]
	v_add_f64 v[42:43], v[8:9], v[50:51]
	v_fma_f64 v[8:9], v[12:13], s[16:17], -v[46:47]
	v_add_f64 v[16:17], v[18:19], -v[20:21]
	v_add_f64 v[46:47], v[8:9], v[66:67]
	v_mul_f64 v[8:9], v[16:17], s[14:15]
	s_mov_b32 s17, 0x3fe77f67
	v_fma_f64 v[20:21], v[60:61], s[12:13], -v[8:9]
	v_fma_f64 v[18:19], v[40:41], s[16:17], -v[64:65]
	;; [unrolled: 1-line block ×5, first 2 shown]
	v_fmac_f64_e32 v[56:57], s[2:3], v[62:63]
	v_add_f64 v[26:27], v[58:59], v[50:51]
	v_add_f64 v[58:59], v[6:7], v[66:67]
	v_fmac_f64_e32 v[68:69], s[2:3], v[52:53]
	v_fmac_f64_e32 v[24:25], s[2:3], v[62:63]
	;; [unrolled: 1-line block ×3, first 2 shown]
	v_add_f64 v[18:19], v[18:19], v[50:51]
	v_fmac_f64_e32 v[22:23], s[2:3], v[62:63]
	v_fmac_f64_e32 v[16:17], s[2:3], v[52:53]
	v_add_f64 v[40:41], v[12:13], v[66:67]
	v_add_f64 v[6:7], v[56:57], v[26:27]
	v_add_f64 v[4:5], v[58:59], -v[68:69]
	v_add_f64 v[10:11], v[24:25], v[42:43]
	v_add_f64 v[8:9], v[46:47], -v[20:21]
	v_add_f64 v[14:15], v[18:19], -v[22:23]
	v_add_f64 v[12:13], v[16:17], v[40:41]
	v_add_f64 v[18:19], v[22:23], v[18:19]
	v_add_f64 v[16:17], v[40:41], -v[16:17]
	v_add_f64 v[22:23], v[42:43], -v[24:25]
	v_add_f64 v[20:21], v[20:21], v[46:47]
	v_add_f64 v[26:27], v[26:27], -v[56:57]
	v_add_f64 v[24:25], v[68:69], v[58:59]
	ds_write_b128 v35, v[0:3]
	ds_write_b128 v35, v[24:27] offset:2400
	ds_write_b128 v35, v[20:23] offset:4800
	;; [unrolled: 1-line block ×6, first 2 shown]
.LBB0_23:
	s_or_b64 exec, exec, s[10:11]
	s_waitcnt lgkmcnt(0)
	s_barrier
	ds_read_b128 v[0:3], v35
	s_add_u32 s8, s8, 0x4180
	s_addc_u32 s9, s9, 0
	v_sub_u32_e32 v8, 0, v33
	v_cmp_ne_u32_e64 s[2:3], 0, v32
                                        ; implicit-def: $vgpr6_vgpr7
                                        ; implicit-def: $vgpr4_vgpr5
	s_and_saveexec_b64 s[10:11], s[2:3]
	s_xor_b64 s[2:3], exec, s[10:11]
	s_cbranch_execz .LBB0_25
; %bb.24:
	v_mov_b32_e32 v33, 0
	v_lshl_add_u64 v[4:5], v[32:33], 4, s[8:9]
	global_load_dwordx4 v[10:13], v[4:5], off
	ds_read_b128 v[4:7], v8 offset:16800
	s_waitcnt lgkmcnt(0)
	v_add_f64 v[14:15], v[0:1], v[4:5]
	v_add_f64 v[16:17], v[2:3], v[6:7]
	v_add_f64 v[0:1], v[0:1], -v[4:5]
	v_add_f64 v[2:3], v[2:3], -v[6:7]
	v_mul_f64 v[6:7], v[16:17], 0.5
	v_mul_f64 v[0:1], v[0:1], 0.5
	;; [unrolled: 1-line block ×3, first 2 shown]
	s_waitcnt vmcnt(0)
	v_mul_f64 v[16:17], v[0:1], v[12:13]
	v_fma_f64 v[18:19], v[6:7], v[12:13], v[2:3]
	v_fma_f64 v[2:3], v[6:7], v[12:13], -v[2:3]
	v_fma_f64 v[4:5], 0.5, v[14:15], v[16:17]
	v_fma_f64 v[12:13], -v[10:11], v[0:1], v[18:19]
	v_fma_f64 v[14:15], v[14:15], 0.5, -v[16:17]
	v_fma_f64 v[0:1], -v[10:11], v[0:1], v[2:3]
	v_fmac_f64_e32 v[4:5], v[6:7], v[10:11]
	ds_write_b64 v35, v[12:13] offset:8
	v_fma_f64 v[6:7], -v[6:7], v[10:11], v[14:15]
	ds_write_b64 v8, v[0:1] offset:16808
                                        ; implicit-def: $vgpr0_vgpr1
.LBB0_25:
	s_or_saveexec_b64 s[2:3], s[2:3]
	v_sub_u32_e32 v9, 0, v37
	s_xor_b64 exec, exec, s[2:3]
	s_cbranch_execz .LBB0_27
; %bb.26:
	s_mov_b32 s10, 0
	s_mov_b32 s11, s10
	v_mov_b64_e32 v[4:5], s[10:11]
	ds_write_b64 v35, v[4:5] offset:8
	ds_write_b64 v8, v[4:5] offset:16808
	v_mov_b32_e32 v12, 0
	ds_read_b64 v[10:11], v12 offset:8408
	s_waitcnt lgkmcnt(3)
	v_add_f64 v[4:5], v[0:1], v[2:3]
	v_add_f64 v[6:7], v[0:1], -v[2:3]
	s_waitcnt lgkmcnt(0)
	v_xor_b32_e32 v11, 0x80000000, v11
	ds_write_b64 v12, v[10:11] offset:8408
.LBB0_27:
	s_or_b64 exec, exec, s[2:3]
	v_mov_b32_e32 v37, 0
	s_waitcnt lgkmcnt(0)
	v_lshl_add_u64 v[0:1], v[36:37], 4, s[8:9]
	global_load_dwordx4 v[0:3], v[0:1], off
	ds_write_b64 v35, v[4:5]
	ds_write_b64 v8, v[6:7] offset:16800
	v_add_u32_e32 v9, v38, v9
	ds_read_b128 v[4:7], v9
	ds_read_b128 v[10:13], v8 offset:13440
	s_waitcnt lgkmcnt(0)
	v_add_f64 v[14:15], v[4:5], v[10:11]
	v_add_f64 v[4:5], v[4:5], -v[10:11]
	v_add_f64 v[16:17], v[6:7], v[12:13]
	v_add_f64 v[6:7], v[6:7], -v[12:13]
	v_mul_f64 v[12:13], v[4:5], 0.5
	v_mul_f64 v[10:11], v[16:17], 0.5
	;; [unrolled: 1-line block ×3, first 2 shown]
	s_waitcnt vmcnt(0)
	v_mul_f64 v[6:7], v[12:13], v[2:3]
	v_fma_f64 v[16:17], v[10:11], v[2:3], v[4:5]
	v_fma_f64 v[18:19], v[10:11], v[2:3], -v[4:5]
	v_fma_f64 v[2:3], 0.5, v[14:15], v[6:7]
	v_fma_f64 v[4:5], -v[0:1], v[12:13], v[16:17]
	v_fma_f64 v[6:7], v[14:15], 0.5, -v[6:7]
	v_fmac_f64_e32 v[2:3], v[10:11], v[0:1]
	v_fma_f64 v[12:13], -v[0:1], v[12:13], v[18:19]
	v_fma_f64 v[10:11], -v[10:11], v[0:1], v[6:7]
	ds_write_b128 v9, v[2:5]
	ds_write_b128 v8, v[10:13] offset:13440
	s_and_saveexec_b64 s[2:3], vcc
	s_cbranch_execz .LBB0_29
; %bb.28:
	v_mov_b32_e32 v35, v37
	v_lshl_add_u64 v[0:1], v[34:35], 4, s[8:9]
	global_load_dwordx4 v[0:3], v[0:1], off
	ds_read_b128 v[4:7], v39
	ds_read_b128 v[10:13], v8 offset:10080
	s_waitcnt lgkmcnt(0)
	v_add_f64 v[14:15], v[4:5], v[10:11]
	v_add_f64 v[4:5], v[4:5], -v[10:11]
	v_add_f64 v[16:17], v[6:7], v[12:13]
	v_add_f64 v[6:7], v[6:7], -v[12:13]
	v_mul_f64 v[12:13], v[4:5], 0.5
	v_mul_f64 v[10:11], v[16:17], 0.5
	v_mul_f64 v[4:5], v[6:7], 0.5
	s_waitcnt vmcnt(0)
	v_mul_f64 v[6:7], v[12:13], v[2:3]
	v_fma_f64 v[16:17], v[10:11], v[2:3], v[4:5]
	v_fma_f64 v[18:19], v[10:11], v[2:3], -v[4:5]
	v_fma_f64 v[2:3], 0.5, v[14:15], v[6:7]
	v_fma_f64 v[4:5], -v[0:1], v[12:13], v[16:17]
	v_fma_f64 v[6:7], v[14:15], 0.5, -v[6:7]
	v_fmac_f64_e32 v[2:3], v[10:11], v[0:1]
	v_fma_f64 v[12:13], -v[0:1], v[12:13], v[18:19]
	v_fma_f64 v[10:11], -v[10:11], v[0:1], v[6:7]
	ds_write_b128 v39, v[2:5]
	ds_write_b128 v8, v[10:13] offset:10080
.LBB0_29:
	s_or_b64 exec, exec, s[2:3]
	s_waitcnt lgkmcnt(0)
	s_barrier
	s_and_saveexec_b64 s[2:3], s[0:1]
	s_cbranch_execz .LBB0_32
; %bb.30:
	v_mul_lo_u32 v2, s5, v30
	v_mul_lo_u32 v3, s4, v31
	v_mad_u64_u32 v[0:1], s[0:1], s4, v30, 0
	v_lshl_add_u32 v12, v32, 4, 0
	v_add3_u32 v1, v1, v3, v2
	ds_read_b128 v[2:5], v12
	ds_read_b128 v[6:9], v12 offset:3360
	v_lshl_add_u64 v[0:1], v[0:1], 4, s[6:7]
	v_mov_b32_e32 v33, 0
	v_lshl_add_u64 v[0:1], v[28:29], 4, v[0:1]
	v_lshl_add_u64 v[10:11], v[32:33], 4, v[0:1]
	s_waitcnt lgkmcnt(1)
	global_store_dwordx4 v[10:11], v[2:5], off
	s_movk_i32 s0, 0xd1
	v_cmp_eq_u32_e32 vcc, s0, v32
	v_add_u32_e32 v2, 0xd2, v32
	v_mov_b32_e32 v3, v33
	v_lshl_add_u64 v[2:3], v[2:3], 4, v[0:1]
	s_waitcnt lgkmcnt(0)
	global_store_dwordx4 v[2:3], v[6:9], off
	ds_read_b128 v[2:5], v12 offset:6720
	s_nop 0
	v_add_u32_e32 v6, 0x1a4, v32
	v_mov_b32_e32 v7, v33
	v_lshl_add_u64 v[10:11], v[6:7], 4, v[0:1]
	ds_read_b128 v[6:9], v12 offset:10080
	s_waitcnt lgkmcnt(1)
	global_store_dwordx4 v[10:11], v[2:5], off
	s_nop 1
	v_add_u32_e32 v2, 0x276, v32
	v_mov_b32_e32 v3, v33
	v_lshl_add_u64 v[10:11], v[2:3], 4, v[0:1]
	ds_read_b128 v[2:5], v12 offset:13440
	s_waitcnt lgkmcnt(1)
	global_store_dwordx4 v[10:11], v[6:9], off
	s_nop 1
	v_add_u32_e32 v6, 0x348, v32
	v_mov_b32_e32 v7, v33
	v_lshl_add_u64 v[6:7], v[6:7], 4, v[0:1]
	s_waitcnt lgkmcnt(0)
	global_store_dwordx4 v[6:7], v[2:5], off
	s_and_b64 exec, exec, vcc
	s_cbranch_execz .LBB0_32
; %bb.31:
	ds_read_b128 v[2:5], v33 offset:16800
	v_add_co_u32_e32 v0, vcc, 0x4000, v0
	s_nop 1
	v_addc_co_u32_e32 v1, vcc, 0, v1, vcc
	s_waitcnt lgkmcnt(0)
	global_store_dwordx4 v[0:1], v[2:5], off offset:416
.LBB0_32:
	s_endpgm
	.section	.rodata,"a",@progbits
	.p2align	6, 0x0
	.amdhsa_kernel fft_rtc_fwd_len1050_factors_2_3_5_5_7_wgs_210_tpt_210_dp_op_CI_CI_unitstride_sbrr_R2C_dirReg
		.amdhsa_group_segment_fixed_size 0
		.amdhsa_private_segment_fixed_size 0
		.amdhsa_kernarg_size 104
		.amdhsa_user_sgpr_count 2
		.amdhsa_user_sgpr_dispatch_ptr 0
		.amdhsa_user_sgpr_queue_ptr 0
		.amdhsa_user_sgpr_kernarg_segment_ptr 1
		.amdhsa_user_sgpr_dispatch_id 0
		.amdhsa_user_sgpr_kernarg_preload_length 0
		.amdhsa_user_sgpr_kernarg_preload_offset 0
		.amdhsa_user_sgpr_private_segment_size 0
		.amdhsa_uses_dynamic_stack 0
		.amdhsa_enable_private_segment 0
		.amdhsa_system_sgpr_workgroup_id_x 1
		.amdhsa_system_sgpr_workgroup_id_y 0
		.amdhsa_system_sgpr_workgroup_id_z 0
		.amdhsa_system_sgpr_workgroup_info 0
		.amdhsa_system_vgpr_workitem_id 0
		.amdhsa_next_free_vgpr 74
		.amdhsa_next_free_sgpr 28
		.amdhsa_accum_offset 76
		.amdhsa_reserve_vcc 1
		.amdhsa_float_round_mode_32 0
		.amdhsa_float_round_mode_16_64 0
		.amdhsa_float_denorm_mode_32 3
		.amdhsa_float_denorm_mode_16_64 3
		.amdhsa_dx10_clamp 1
		.amdhsa_ieee_mode 1
		.amdhsa_fp16_overflow 0
		.amdhsa_tg_split 0
		.amdhsa_exception_fp_ieee_invalid_op 0
		.amdhsa_exception_fp_denorm_src 0
		.amdhsa_exception_fp_ieee_div_zero 0
		.amdhsa_exception_fp_ieee_overflow 0
		.amdhsa_exception_fp_ieee_underflow 0
		.amdhsa_exception_fp_ieee_inexact 0
		.amdhsa_exception_int_div_zero 0
	.end_amdhsa_kernel
	.text
.Lfunc_end0:
	.size	fft_rtc_fwd_len1050_factors_2_3_5_5_7_wgs_210_tpt_210_dp_op_CI_CI_unitstride_sbrr_R2C_dirReg, .Lfunc_end0-fft_rtc_fwd_len1050_factors_2_3_5_5_7_wgs_210_tpt_210_dp_op_CI_CI_unitstride_sbrr_R2C_dirReg
                                        ; -- End function
	.section	.AMDGPU.csdata,"",@progbits
; Kernel info:
; codeLenInByte = 6096
; NumSgprs: 34
; NumVgprs: 74
; NumAgprs: 0
; TotalNumVgprs: 74
; ScratchSize: 0
; MemoryBound: 0
; FloatMode: 240
; IeeeMode: 1
; LDSByteSize: 0 bytes/workgroup (compile time only)
; SGPRBlocks: 4
; VGPRBlocks: 9
; NumSGPRsForWavesPerEU: 34
; NumVGPRsForWavesPerEU: 74
; AccumOffset: 76
; Occupancy: 6
; WaveLimiterHint : 1
; COMPUTE_PGM_RSRC2:SCRATCH_EN: 0
; COMPUTE_PGM_RSRC2:USER_SGPR: 2
; COMPUTE_PGM_RSRC2:TRAP_HANDLER: 0
; COMPUTE_PGM_RSRC2:TGID_X_EN: 1
; COMPUTE_PGM_RSRC2:TGID_Y_EN: 0
; COMPUTE_PGM_RSRC2:TGID_Z_EN: 0
; COMPUTE_PGM_RSRC2:TIDIG_COMP_CNT: 0
; COMPUTE_PGM_RSRC3_GFX90A:ACCUM_OFFSET: 18
; COMPUTE_PGM_RSRC3_GFX90A:TG_SPLIT: 0
	.text
	.p2alignl 6, 3212836864
	.fill 256, 4, 3212836864
	.type	__hip_cuid_3dfd3bb55ed717f9,@object ; @__hip_cuid_3dfd3bb55ed717f9
	.section	.bss,"aw",@nobits
	.globl	__hip_cuid_3dfd3bb55ed717f9
__hip_cuid_3dfd3bb55ed717f9:
	.byte	0                               ; 0x0
	.size	__hip_cuid_3dfd3bb55ed717f9, 1

	.ident	"AMD clang version 19.0.0git (https://github.com/RadeonOpenCompute/llvm-project roc-6.4.0 25133 c7fe45cf4b819c5991fe208aaa96edf142730f1d)"
	.section	".note.GNU-stack","",@progbits
	.addrsig
	.addrsig_sym __hip_cuid_3dfd3bb55ed717f9
	.amdgpu_metadata
---
amdhsa.kernels:
  - .agpr_count:     0
    .args:
      - .actual_access:  read_only
        .address_space:  global
        .offset:         0
        .size:           8
        .value_kind:     global_buffer
      - .offset:         8
        .size:           8
        .value_kind:     by_value
      - .actual_access:  read_only
        .address_space:  global
        .offset:         16
        .size:           8
        .value_kind:     global_buffer
      - .actual_access:  read_only
        .address_space:  global
        .offset:         24
        .size:           8
        .value_kind:     global_buffer
      - .actual_access:  read_only
        .address_space:  global
        .offset:         32
        .size:           8
        .value_kind:     global_buffer
      - .offset:         40
        .size:           8
        .value_kind:     by_value
      - .actual_access:  read_only
        .address_space:  global
        .offset:         48
        .size:           8
        .value_kind:     global_buffer
      - .actual_access:  read_only
        .address_space:  global
        .offset:         56
        .size:           8
        .value_kind:     global_buffer
      - .offset:         64
        .size:           4
        .value_kind:     by_value
      - .actual_access:  read_only
        .address_space:  global
        .offset:         72
        .size:           8
        .value_kind:     global_buffer
      - .actual_access:  read_only
        .address_space:  global
        .offset:         80
        .size:           8
        .value_kind:     global_buffer
      - .actual_access:  read_only
        .address_space:  global
        .offset:         88
        .size:           8
        .value_kind:     global_buffer
      - .actual_access:  write_only
        .address_space:  global
        .offset:         96
        .size:           8
        .value_kind:     global_buffer
    .group_segment_fixed_size: 0
    .kernarg_segment_align: 8
    .kernarg_segment_size: 104
    .language:       OpenCL C
    .language_version:
      - 2
      - 0
    .max_flat_workgroup_size: 210
    .name:           fft_rtc_fwd_len1050_factors_2_3_5_5_7_wgs_210_tpt_210_dp_op_CI_CI_unitstride_sbrr_R2C_dirReg
    .private_segment_fixed_size: 0
    .sgpr_count:     34
    .sgpr_spill_count: 0
    .symbol:         fft_rtc_fwd_len1050_factors_2_3_5_5_7_wgs_210_tpt_210_dp_op_CI_CI_unitstride_sbrr_R2C_dirReg.kd
    .uniform_work_group_size: 1
    .uses_dynamic_stack: false
    .vgpr_count:     74
    .vgpr_spill_count: 0
    .wavefront_size: 64
amdhsa.target:   amdgcn-amd-amdhsa--gfx950
amdhsa.version:
  - 1
  - 2
...

	.end_amdgpu_metadata
